;; amdgpu-corpus repo=ROCm/rocFFT kind=compiled arch=gfx1030 opt=O3
	.text
	.amdgcn_target "amdgcn-amd-amdhsa--gfx1030"
	.amdhsa_code_object_version 6
	.protected	fft_rtc_back_len450_factors_10_5_3_3_wgs_120_tpt_30_halfLds_dp_ip_CI_sbrr_dirReg ; -- Begin function fft_rtc_back_len450_factors_10_5_3_3_wgs_120_tpt_30_halfLds_dp_ip_CI_sbrr_dirReg
	.globl	fft_rtc_back_len450_factors_10_5_3_3_wgs_120_tpt_30_halfLds_dp_ip_CI_sbrr_dirReg
	.p2align	8
	.type	fft_rtc_back_len450_factors_10_5_3_3_wgs_120_tpt_30_halfLds_dp_ip_CI_sbrr_dirReg,@function
fft_rtc_back_len450_factors_10_5_3_3_wgs_120_tpt_30_halfLds_dp_ip_CI_sbrr_dirReg: ; @fft_rtc_back_len450_factors_10_5_3_3_wgs_120_tpt_30_halfLds_dp_ip_CI_sbrr_dirReg
; %bb.0:
	s_clause 0x2
	s_load_dwordx2 s[14:15], s[4:5], 0x18
	s_load_dwordx4 s[8:11], s[4:5], 0x0
	s_load_dwordx2 s[12:13], s[4:5], 0x50
	v_mul_u32_u24_e32 v1, 0x889, v0
	v_mov_b32_e32 v3, 0
	v_lshrrev_b32_e32 v102, 16, v1
	v_mov_b32_e32 v1, 0
	v_mov_b32_e32 v6, v3
	v_mov_b32_e32 v2, 0
	v_lshl_add_u32 v5, s6, 2, v102
	s_waitcnt lgkmcnt(0)
	s_load_dwordx2 s[2:3], s[14:15], 0x0
	v_cmp_lt_u64_e64 s0, s[10:11], 2
	s_and_b32 vcc_lo, exec_lo, s0
	s_cbranch_vccnz .LBB0_8
; %bb.1:
	s_load_dwordx2 s[0:1], s[4:5], 0x10
	v_mov_b32_e32 v1, 0
	s_add_u32 s6, s14, 8
	v_mov_b32_e32 v2, 0
	s_addc_u32 s7, s15, 0
	s_mov_b64 s[18:19], 1
	s_waitcnt lgkmcnt(0)
	s_add_u32 s16, s0, 8
	s_addc_u32 s17, s1, 0
.LBB0_2:                                ; =>This Inner Loop Header: Depth=1
	s_load_dwordx2 s[20:21], s[16:17], 0x0
                                        ; implicit-def: $vgpr7_vgpr8
	s_mov_b32 s0, exec_lo
	s_waitcnt lgkmcnt(0)
	v_or_b32_e32 v4, s21, v6
	v_cmpx_ne_u64_e32 0, v[3:4]
	s_xor_b32 s1, exec_lo, s0
	s_cbranch_execz .LBB0_4
; %bb.3:                                ;   in Loop: Header=BB0_2 Depth=1
	v_cvt_f32_u32_e32 v4, s20
	v_cvt_f32_u32_e32 v7, s21
	s_sub_u32 s0, 0, s20
	s_subb_u32 s22, 0, s21
	v_fmac_f32_e32 v4, 0x4f800000, v7
	v_rcp_f32_e32 v4, v4
	v_mul_f32_e32 v4, 0x5f7ffffc, v4
	v_mul_f32_e32 v7, 0x2f800000, v4
	v_trunc_f32_e32 v7, v7
	v_fmac_f32_e32 v4, 0xcf800000, v7
	v_cvt_u32_f32_e32 v7, v7
	v_cvt_u32_f32_e32 v4, v4
	v_mul_lo_u32 v8, s0, v7
	v_mul_hi_u32 v9, s0, v4
	v_mul_lo_u32 v10, s22, v4
	v_add_nc_u32_e32 v8, v9, v8
	v_mul_lo_u32 v9, s0, v4
	v_add_nc_u32_e32 v8, v8, v10
	v_mul_hi_u32 v10, v4, v9
	v_mul_lo_u32 v11, v4, v8
	v_mul_hi_u32 v12, v4, v8
	v_mul_hi_u32 v13, v7, v9
	v_mul_lo_u32 v9, v7, v9
	v_mul_hi_u32 v14, v7, v8
	v_mul_lo_u32 v8, v7, v8
	v_add_co_u32 v10, vcc_lo, v10, v11
	v_add_co_ci_u32_e32 v11, vcc_lo, 0, v12, vcc_lo
	v_add_co_u32 v9, vcc_lo, v10, v9
	v_add_co_ci_u32_e32 v9, vcc_lo, v11, v13, vcc_lo
	v_add_co_ci_u32_e32 v10, vcc_lo, 0, v14, vcc_lo
	v_add_co_u32 v8, vcc_lo, v9, v8
	v_add_co_ci_u32_e32 v9, vcc_lo, 0, v10, vcc_lo
	v_add_co_u32 v4, vcc_lo, v4, v8
	v_add_co_ci_u32_e32 v7, vcc_lo, v7, v9, vcc_lo
	v_mul_hi_u32 v8, s0, v4
	v_mul_lo_u32 v10, s22, v4
	v_mul_lo_u32 v9, s0, v7
	v_add_nc_u32_e32 v8, v8, v9
	v_mul_lo_u32 v9, s0, v4
	v_add_nc_u32_e32 v8, v8, v10
	v_mul_hi_u32 v10, v4, v9
	v_mul_lo_u32 v11, v4, v8
	v_mul_hi_u32 v12, v4, v8
	v_mul_hi_u32 v13, v7, v9
	v_mul_lo_u32 v9, v7, v9
	v_mul_hi_u32 v14, v7, v8
	v_mul_lo_u32 v8, v7, v8
	v_add_co_u32 v10, vcc_lo, v10, v11
	v_add_co_ci_u32_e32 v11, vcc_lo, 0, v12, vcc_lo
	v_add_co_u32 v9, vcc_lo, v10, v9
	v_add_co_ci_u32_e32 v9, vcc_lo, v11, v13, vcc_lo
	v_add_co_ci_u32_e32 v10, vcc_lo, 0, v14, vcc_lo
	v_add_co_u32 v8, vcc_lo, v9, v8
	v_add_co_ci_u32_e32 v9, vcc_lo, 0, v10, vcc_lo
	v_add_co_u32 v4, vcc_lo, v4, v8
	v_add_co_ci_u32_e32 v11, vcc_lo, v7, v9, vcc_lo
	v_mul_hi_u32 v13, v5, v4
	v_mad_u64_u32 v[9:10], null, v6, v4, 0
	v_mad_u64_u32 v[7:8], null, v5, v11, 0
	;; [unrolled: 1-line block ×3, first 2 shown]
	v_add_co_u32 v4, vcc_lo, v13, v7
	v_add_co_ci_u32_e32 v7, vcc_lo, 0, v8, vcc_lo
	v_add_co_u32 v4, vcc_lo, v4, v9
	v_add_co_ci_u32_e32 v4, vcc_lo, v7, v10, vcc_lo
	v_add_co_ci_u32_e32 v7, vcc_lo, 0, v12, vcc_lo
	v_add_co_u32 v4, vcc_lo, v4, v11
	v_add_co_ci_u32_e32 v9, vcc_lo, 0, v7, vcc_lo
	v_mul_lo_u32 v10, s21, v4
	v_mad_u64_u32 v[7:8], null, s20, v4, 0
	v_mul_lo_u32 v11, s20, v9
	v_sub_co_u32 v7, vcc_lo, v5, v7
	v_add3_u32 v8, v8, v11, v10
	v_sub_nc_u32_e32 v10, v6, v8
	v_subrev_co_ci_u32_e64 v10, s0, s21, v10, vcc_lo
	v_add_co_u32 v11, s0, v4, 2
	v_add_co_ci_u32_e64 v12, s0, 0, v9, s0
	v_sub_co_u32 v13, s0, v7, s20
	v_sub_co_ci_u32_e32 v8, vcc_lo, v6, v8, vcc_lo
	v_subrev_co_ci_u32_e64 v10, s0, 0, v10, s0
	v_cmp_le_u32_e32 vcc_lo, s20, v13
	v_cmp_eq_u32_e64 s0, s21, v8
	v_cndmask_b32_e64 v13, 0, -1, vcc_lo
	v_cmp_le_u32_e32 vcc_lo, s21, v10
	v_cndmask_b32_e64 v14, 0, -1, vcc_lo
	v_cmp_le_u32_e32 vcc_lo, s20, v7
	;; [unrolled: 2-line block ×3, first 2 shown]
	v_cndmask_b32_e64 v15, 0, -1, vcc_lo
	v_cmp_eq_u32_e32 vcc_lo, s21, v10
	v_cndmask_b32_e64 v7, v15, v7, s0
	v_cndmask_b32_e32 v10, v14, v13, vcc_lo
	v_add_co_u32 v13, vcc_lo, v4, 1
	v_add_co_ci_u32_e32 v14, vcc_lo, 0, v9, vcc_lo
	v_cmp_ne_u32_e32 vcc_lo, 0, v10
	v_cndmask_b32_e32 v8, v14, v12, vcc_lo
	v_cndmask_b32_e32 v10, v13, v11, vcc_lo
	v_cmp_ne_u32_e32 vcc_lo, 0, v7
	v_cndmask_b32_e32 v8, v9, v8, vcc_lo
	v_cndmask_b32_e32 v7, v4, v10, vcc_lo
.LBB0_4:                                ;   in Loop: Header=BB0_2 Depth=1
	s_andn2_saveexec_b32 s0, s1
	s_cbranch_execz .LBB0_6
; %bb.5:                                ;   in Loop: Header=BB0_2 Depth=1
	v_cvt_f32_u32_e32 v4, s20
	s_sub_i32 s1, 0, s20
	v_rcp_iflag_f32_e32 v4, v4
	v_mul_f32_e32 v4, 0x4f7ffffe, v4
	v_cvt_u32_f32_e32 v4, v4
	v_mul_lo_u32 v7, s1, v4
	v_mul_hi_u32 v7, v4, v7
	v_add_nc_u32_e32 v4, v4, v7
	v_mul_hi_u32 v4, v5, v4
	v_mul_lo_u32 v7, v4, s20
	v_add_nc_u32_e32 v8, 1, v4
	v_sub_nc_u32_e32 v7, v5, v7
	v_subrev_nc_u32_e32 v9, s20, v7
	v_cmp_le_u32_e32 vcc_lo, s20, v7
	v_cndmask_b32_e32 v7, v7, v9, vcc_lo
	v_cndmask_b32_e32 v4, v4, v8, vcc_lo
	v_cmp_le_u32_e32 vcc_lo, s20, v7
	v_add_nc_u32_e32 v8, 1, v4
	v_cndmask_b32_e32 v7, v4, v8, vcc_lo
	v_mov_b32_e32 v8, v3
.LBB0_6:                                ;   in Loop: Header=BB0_2 Depth=1
	s_or_b32 exec_lo, exec_lo, s0
	s_load_dwordx2 s[0:1], s[6:7], 0x0
	v_mul_lo_u32 v4, v8, s20
	v_mul_lo_u32 v11, v7, s21
	v_mad_u64_u32 v[9:10], null, v7, s20, 0
	s_add_u32 s18, s18, 1
	s_addc_u32 s19, s19, 0
	s_add_u32 s6, s6, 8
	s_addc_u32 s7, s7, 0
	s_add_u32 s16, s16, 8
	s_addc_u32 s17, s17, 0
	v_add3_u32 v4, v10, v11, v4
	v_sub_co_u32 v5, vcc_lo, v5, v9
	v_sub_co_ci_u32_e32 v4, vcc_lo, v6, v4, vcc_lo
	s_waitcnt lgkmcnt(0)
	v_mul_lo_u32 v6, s1, v5
	v_mul_lo_u32 v4, s0, v4
	v_mad_u64_u32 v[1:2], null, s0, v5, v[1:2]
	v_cmp_ge_u64_e64 s0, s[18:19], s[10:11]
	s_and_b32 vcc_lo, exec_lo, s0
	v_add3_u32 v2, v6, v2, v4
	s_cbranch_vccnz .LBB0_9
; %bb.7:                                ;   in Loop: Header=BB0_2 Depth=1
	v_mov_b32_e32 v5, v7
	v_mov_b32_e32 v6, v8
	s_branch .LBB0_2
.LBB0_8:
	v_mov_b32_e32 v8, v6
	v_mov_b32_e32 v7, v5
.LBB0_9:
	s_lshl_b64 s[0:1], s[10:11], 3
	v_mul_hi_u32 v3, 0x8888889, v0
	s_add_u32 s0, s14, s0
	s_addc_u32 s1, s15, s1
                                        ; implicit-def: $vgpr64_vgpr65
                                        ; implicit-def: $vgpr60_vgpr61
                                        ; implicit-def: $vgpr72_vgpr73
                                        ; implicit-def: $vgpr68_vgpr69
                                        ; implicit-def: $vgpr80_vgpr81
                                        ; implicit-def: $vgpr76_vgpr77
                                        ; implicit-def: $vgpr56_vgpr57
                                        ; implicit-def: $vgpr44_vgpr45
                                        ; implicit-def: $vgpr32_vgpr33
                                        ; implicit-def: $vgpr28_vgpr29
                                        ; implicit-def: $vgpr14_vgpr15
                                        ; implicit-def: $vgpr10_vgpr11
                                        ; implicit-def: $vgpr36_vgpr37
                                        ; implicit-def: $vgpr40_vgpr41
                                        ; implicit-def: $vgpr48_vgpr49
                                        ; implicit-def: $vgpr52_vgpr53
                                        ; implicit-def: $vgpr22_vgpr23
                                        ; implicit-def: $vgpr18_vgpr19
	s_load_dwordx2 s[0:1], s[0:1], 0x0
	s_load_dwordx2 s[4:5], s[4:5], 0x20
	v_mul_u32_u24_e32 v3, 30, v3
	v_sub_nc_u32_e32 v116, v0, v3
	v_add_nc_u32_e32 v114, 0x5a, v116
	v_add_nc_u32_e32 v117, 0xb4, v116
	;; [unrolled: 1-line block ×3, first 2 shown]
	s_waitcnt lgkmcnt(0)
	v_mul_lo_u32 v4, s0, v8
	v_mul_lo_u32 v5, s1, v7
	v_mad_u64_u32 v[1:2], null, s0, v7, v[1:2]
	v_cmp_gt_u64_e32 vcc_lo, s[4:5], v[7:8]
                                        ; implicit-def: $vgpr6_vgpr7
	v_add3_u32 v2, v5, v2, v4
	v_lshlrev_b64 v[104:105], 4, v[1:2]
                                        ; implicit-def: $vgpr2_vgpr3
	s_and_saveexec_b32 s1, vcc_lo
	s_cbranch_execz .LBB0_13
; %bb.10:
	v_add_nc_u32_e32 v6, 45, v116
	v_mad_u64_u32 v[0:1], null, s2, v116, 0
	v_mad_u64_u32 v[8:9], null, s2, v114, 0
	;; [unrolled: 1-line block ×3, first 2 shown]
	v_add_nc_u32_e32 v7, 0x87, v116
	v_add_nc_u32_e32 v18, 0xe1, v116
	v_add_co_u32 v24, s0, s12, v104
	v_add_co_ci_u32_e64 v25, s0, s13, v105, s0
	v_mad_u64_u32 v[4:5], null, s3, v116, v[1:2]
	v_mov_b32_e32 v1, v3
	v_mad_u64_u32 v[10:11], null, s2, v7, 0
	v_mad_u64_u32 v[14:15], null, s2, v18, 0
	;; [unrolled: 1-line block ×3, first 2 shown]
	v_mov_b32_e32 v1, v4
	v_mov_b32_e32 v4, v9
	;; [unrolled: 1-line block ×3, first 2 shown]
	v_add_nc_u32_e32 v31, 0x10e, v116
	v_add_nc_u32_e32 v32, 0x13b, v116
	v_lshlrev_b64 v[0:1], 4, v[0:1]
	v_mov_b32_e32 v3, v5
	v_mad_u64_u32 v[4:5], null, s3, v114, v[4:5]
	v_mad_u64_u32 v[11:12], null, s3, v7, v[6:7]
	;; [unrolled: 1-line block ×3, first 2 shown]
	v_lshlrev_b64 v[2:3], 4, v[2:3]
	v_add_co_u32 v0, s0, v24, v0
	v_mov_b32_e32 v9, v4
	v_add_co_ci_u32_e64 v1, s0, v25, v1, s0
	v_mad_u64_u32 v[16:17], null, s3, v117, v[13:14]
	v_lshlrev_b64 v[8:9], 4, v[8:9]
	v_add_co_u32 v5, s0, v24, v2
	v_lshlrev_b64 v[10:11], 4, v[10:11]
	v_mov_b32_e32 v13, v15
	v_add_co_ci_u32_e64 v6, s0, v25, v3, s0
	v_add_co_u32 v8, s0, v24, v8
	v_add_co_ci_u32_e64 v9, s0, v25, v9, s0
	v_mad_u64_u32 v[26:27], null, s2, v31, 0
	v_add_co_u32 v10, s0, v24, v10
	v_mad_u64_u32 v[28:29], null, s3, v18, v[13:14]
	v_mov_b32_e32 v13, v16
	v_mad_u64_u32 v[29:30], null, s2, v32, 0
	v_add_co_ci_u32_e64 v11, s0, v25, v11, s0
	s_clause 0x3
	global_load_dwordx4 v[0:3], v[0:1], off
	global_load_dwordx4 v[4:7], v[5:6], off
	;; [unrolled: 1-line block ×4, first 2 shown]
	v_lshlrev_b64 v[8:9], 4, v[12:13]
	v_mad_u64_u32 v[12:13], null, s2, v115, 0
	v_mad_u64_u32 v[10:11], null, s3, v31, v[27:28]
	v_mov_b32_e32 v11, v30
	v_mov_b32_e32 v15, v28
	v_add_nc_u32_e32 v28, 0x195, v116
	v_add_co_u32 v8, s0, v24, v8
	v_mad_u64_u32 v[30:31], null, s3, v32, v[11:12]
	v_mad_u64_u32 v[31:32], null, s2, v28, 0
	v_mov_b32_e32 v11, v13
	v_lshlrev_b64 v[13:14], 4, v[14:15]
	v_mov_b32_e32 v27, v10
	v_add_co_ci_u32_e64 v9, s0, v25, v9, s0
	v_mad_u64_u32 v[10:11], null, s3, v115, v[11:12]
	v_mov_b32_e32 v11, v32
	v_add_co_u32 v33, s0, v24, v13
	v_add_co_ci_u32_e64 v34, s0, v25, v14, s0
	v_lshlrev_b64 v[14:15], 4, v[26:27]
	v_mad_u64_u32 v[26:27], null, s3, v28, v[11:12]
	v_mov_b32_e32 v13, v10
	v_lshlrev_b64 v[27:28], 4, v[29:30]
	s_mov_b32 s4, exec_lo
	v_add_co_u32 v10, s0, v24, v14
	v_lshlrev_b64 v[12:13], 4, v[12:13]
	v_mov_b32_e32 v32, v26
	v_add_co_ci_u32_e64 v11, s0, v25, v15, s0
	v_add_co_u32 v14, s0, v24, v27
	v_lshlrev_b64 v[26:27], 4, v[31:32]
	v_add_co_ci_u32_e64 v15, s0, v25, v28, s0
	v_add_co_u32 v12, s0, v24, v12
	v_add_co_ci_u32_e64 v13, s0, v25, v13, s0
	v_add_co_u32 v26, s0, v24, v26
	v_add_co_ci_u32_e64 v27, s0, v25, v27, s0
	s_clause 0x5
	global_load_dwordx4 v[50:53], v[8:9], off
	global_load_dwordx4 v[46:49], v[33:34], off
	;; [unrolled: 1-line block ×6, first 2 shown]
                                        ; implicit-def: $vgpr26_vgpr27
                                        ; implicit-def: $vgpr30_vgpr31
                                        ; implicit-def: $vgpr42_vgpr43
                                        ; implicit-def: $vgpr54_vgpr55
                                        ; implicit-def: $vgpr74_vgpr75
                                        ; implicit-def: $vgpr78_vgpr79
                                        ; implicit-def: $vgpr66_vgpr67
                                        ; implicit-def: $vgpr70_vgpr71
                                        ; implicit-def: $vgpr58_vgpr59
                                        ; implicit-def: $vgpr62_vgpr63
	v_cmpx_gt_u32_e32 15, v116
	s_cbranch_execz .LBB0_12
; %bb.11:
	v_add_nc_u32_e32 v32, 30, v116
	v_add_nc_u32_e32 v44, 0x4b, v116
	;; [unrolled: 1-line block ×5, first 2 shown]
	v_mad_u64_u32 v[26:27], null, s2, v32, 0
	v_mad_u64_u32 v[28:29], null, s2, v44, 0
	;; [unrolled: 1-line block ×6, first 2 shown]
	v_mov_b32_e32 v27, v31
	v_mad_u64_u32 v[44:45], null, s3, v44, v[29:30]
	v_mov_b32_e32 v31, v43
	v_add_nc_u32_e32 v67, 0x12c, v116
	v_mad_u64_u32 v[54:55], null, s3, v54, v[27:28]
	v_mov_b32_e32 v27, v32
	v_add_nc_u32_e32 v55, 0xd2, v116
	v_mov_b32_e32 v29, v44
	v_mad_u64_u32 v[43:44], null, s3, v56, v[31:32]
	v_lshlrev_b64 v[26:27], 4, v[26:27]
	v_mov_b32_e32 v31, v54
	v_mad_u64_u32 v[58:59], null, s2, v55, 0
	v_lshlrev_b64 v[28:29], 4, v[28:29]
	v_add_nc_u32_e32 v69, 0x159, v116
	v_add_co_u32 v26, s0, v24, v26
	v_lshlrev_b64 v[44:45], 4, v[30:31]
	v_add_co_ci_u32_e64 v27, s0, v25, v27, s0
	v_add_co_u32 v32, s0, v24, v28
	v_mov_b32_e32 v54, v59
	v_lshlrev_b64 v[42:43], 4, v[42:43]
	v_add_co_ci_u32_e64 v33, s0, v25, v29, s0
	v_add_co_u32 v44, s0, v24, v44
	v_add_co_ci_u32_e64 v45, s0, v25, v45, s0
	v_mad_u64_u32 v[54:55], null, s3, v55, v[54:55]
	v_add_co_u32 v55, s0, v24, v42
	v_mov_b32_e32 v42, v61
	v_mad_u64_u32 v[62:63], null, s2, v67, 0
	v_add_nc_u32_e32 v72, 0x186, v116
	v_add_nc_u32_e32 v73, 0x1b3, v116
	v_mad_u64_u32 v[64:65], null, s3, v57, v[42:43]
	v_mad_u64_u32 v[65:66], null, s2, v69, 0
	v_mov_b32_e32 v59, v54
	v_add_co_ci_u32_e64 v56, s0, v25, v43, s0
	s_clause 0x1
	global_load_dwordx4 v[26:29], v[26:27], off
	global_load_dwordx4 v[30:33], v[32:33], off
	v_mov_b32_e32 v61, v64
	v_mad_u64_u32 v[63:64], null, s3, v67, v[63:64]
	v_mov_b32_e32 v64, v66
	v_mad_u64_u32 v[67:68], null, s2, v72, 0
	v_lshlrev_b64 v[58:59], 4, v[58:59]
	v_lshlrev_b64 v[60:61], 4, v[60:61]
	v_mad_u64_u32 v[69:70], null, s3, v69, v[64:65]
	v_mad_u64_u32 v[70:71], null, s2, v73, 0
	v_mov_b32_e32 v64, v68
	v_add_co_u32 v58, s0, v24, v58
	v_lshlrev_b64 v[62:63], 4, v[62:63]
	v_mov_b32_e32 v66, v69
	v_mad_u64_u32 v[68:69], null, s3, v72, v[64:65]
	v_mov_b32_e32 v64, v71
	v_add_co_ci_u32_e64 v59, s0, v25, v59, s0
	v_add_co_u32 v60, s0, v24, v60
	v_mad_u64_u32 v[71:72], null, s3, v73, v[64:65]
	v_lshlrev_b64 v[64:65], 4, v[65:66]
	v_add_co_ci_u32_e64 v61, s0, v25, v61, s0
	v_add_co_u32 v62, s0, v24, v62
	v_lshlrev_b64 v[66:67], 4, v[67:68]
	v_add_co_ci_u32_e64 v63, s0, v25, v63, s0
	v_add_co_u32 v64, s0, v24, v64
	;; [unrolled: 3-line block ×3, first 2 shown]
	v_add_co_ci_u32_e64 v83, s0, v25, v67, s0
	v_add_co_u32 v24, s0, v24, v68
	s_clause 0x1
	global_load_dwordx4 v[42:45], v[44:45], off
	global_load_dwordx4 v[54:57], v[55:56], off
	v_add_co_ci_u32_e64 v25, s0, v25, v69, s0
	s_clause 0x5
	global_load_dwordx4 v[74:77], v[58:59], off
	global_load_dwordx4 v[78:81], v[60:61], off
	;; [unrolled: 1-line block ×6, first 2 shown]
.LBB0_12:
	s_or_b32 exec_lo, exec_lo, s4
.LBB0_13:
	s_or_b32 exec_lo, exec_lo, s1
	s_waitcnt vmcnt(2)
	v_add_f64 v[24:25], v[36:37], v[48:49]
	s_waitcnt vmcnt(0)
	v_add_f64 v[82:83], v[14:15], v[22:23]
	v_add_f64 v[112:113], v[34:35], v[46:47]
	;; [unrolled: 1-line block ×3, first 2 shown]
	v_add_f64 v[124:125], v[20:21], -v[12:13]
	v_add_f64 v[126:127], v[46:47], -v[34:35]
	s_mov_b32 s18, 0x134454ff
	s_mov_b32 s19, 0xbfee6f0e
	;; [unrolled: 1-line block ×4, first 2 shown]
	v_add_f64 v[84:85], v[38:39], v[50:51]
	v_add_f64 v[88:89], v[8:9], v[16:17]
	v_add_f64 v[94:95], v[20:21], -v[46:47]
	v_add_f64 v[108:109], v[46:47], -v[20:21]
	;; [unrolled: 1-line block ×8, first 2 shown]
	v_add_f64 v[20:21], v[20:21], v[4:5]
	s_mov_b32 s14, 0x4755a5e
	v_fma_f64 v[24:25], v[24:25], -0.5, v[6:7]
	v_fma_f64 v[82:83], v[82:83], -0.5, v[6:7]
	;; [unrolled: 1-line block ×4, first 2 shown]
	s_mov_b32 s15, 0xbfe2cf23
	s_mov_b32 s7, 0x3fe2cf23
	;; [unrolled: 1-line block ×3, first 2 shown]
	v_add_f64 v[86:87], v[16:17], -v[50:51]
	v_add_f64 v[90:91], v[8:9], -v[38:39]
	;; [unrolled: 1-line block ×6, first 2 shown]
	v_add_f64 v[136:137], v[16:17], v[0:1]
	v_add_f64 v[156:157], v[70:71], v[78:79]
	v_fma_f64 v[84:85], v[84:85], -0.5, v[0:1]
	v_fma_f64 v[0:1], v[88:89], -0.5, v[0:1]
	v_add_f64 v[88:89], v[120:121], v[118:119]
	v_add_f64 v[158:159], v[72:73], v[80:81]
	;; [unrolled: 1-line block ×4, first 2 shown]
	s_mov_b32 s10, 0x372fe950
	v_fma_f64 v[138:139], v[124:125], s[4:5], v[24:25]
	v_fma_f64 v[122:123], v[126:127], s[18:19], v[82:83]
	v_fma_f64 v[82:83], v[126:127], s[4:5], v[82:83]
	v_fma_f64 v[24:25], v[124:125], s[18:19], v[24:25]
	v_fma_f64 v[118:119], v[128:129], s[18:19], v[112:113]
	v_fma_f64 v[112:113], v[128:129], s[4:5], v[112:113]
	v_fma_f64 v[134:135], v[130:131], s[4:5], v[4:5]
	s_mov_b32 s11, 0x3fd3c6ef
	v_add_f64 v[98:99], v[50:51], -v[16:17]
	v_add_f64 v[100:101], v[38:39], -v[8:9]
	;; [unrolled: 1-line block ×4, first 2 shown]
	v_add_f64 v[162:163], v[96:97], v[94:95]
	v_add_f64 v[108:109], v[110:111], v[108:109]
	;; [unrolled: 1-line block ×4, first 2 shown]
	v_fma_f64 v[46:47], v[156:157], -0.5, v[30:31]
	v_fma_f64 v[136:137], v[92:93], s[18:19], v[84:85]
	v_fma_f64 v[84:85], v[92:93], s[4:5], v[84:85]
	;; [unrolled: 1-line block ×4, first 2 shown]
	v_add_f64 v[86:87], v[90:91], v[86:87]
	v_fma_f64 v[132:133], v[126:127], s[6:7], v[138:139]
	v_fma_f64 v[122:123], v[124:125], s[6:7], v[122:123]
	v_fma_f64 v[138:139], v[130:131], s[18:19], v[4:5]
	v_fma_f64 v[82:83], v[124:125], s[14:15], v[82:83]
	v_fma_f64 v[24:25], v[126:127], s[14:15], v[24:25]
	v_add_f64 v[124:125], v[62:63], v[54:55]
	v_add_f64 v[126:127], v[56:57], -v[64:65]
	v_fma_f64 v[118:119], v[130:131], s[14:15], v[118:119]
	v_fma_f64 v[112:113], v[130:131], s[6:7], v[112:113]
	v_add_f64 v[130:131], v[80:81], -v[72:73]
	v_add_f64 v[144:145], v[78:79], -v[54:55]
	v_add_f64 v[146:147], v[70:71], -v[62:63]
	v_add_f64 v[148:149], v[56:57], -v[80:81]
	v_add_f64 v[150:151], v[64:65], -v[72:73]
	v_add_f64 v[152:153], v[80:81], -v[56:57]
	v_add_f64 v[154:155], v[72:73], -v[64:65]
	v_add_f64 v[110:111], v[38:39], v[110:111]
	v_add_f64 v[34:35], v[34:35], v[20:21]
	v_fma_f64 v[136:137], v[106:107], s[14:15], v[136:137]
	v_fma_f64 v[84:85], v[106:107], s[6:7], v[84:85]
	;; [unrolled: 1-line block ×10, first 2 shown]
	v_add_f64 v[82:83], v[54:55], -v[62:63]
	v_add_f64 v[88:89], v[78:79], -v[70:71]
	v_fma_f64 v[90:91], v[124:125], -0.5, v[30:31]
	v_fma_f64 v[124:125], v[158:159], -0.5, v[32:33]
	;; [unrolled: 1-line block ×3, first 2 shown]
	v_add_f64 v[120:121], v[100:101], v[98:99]
	v_fma_f64 v[134:135], v[126:127], s[18:19], v[46:47]
	v_fma_f64 v[100:101], v[162:163], s[10:11], v[118:119]
	;; [unrolled: 1-line block ×4, first 2 shown]
	s_mov_b32 s16, 0x9b97f4a8
	s_mov_b32 s17, 0x3fe9e377
	;; [unrolled: 1-line block ×6, first 2 shown]
	v_mul_f64 v[112:113], v[0:1], s[14:15]
	v_fma_f64 v[98:99], v[108:109], s[10:11], v[132:133]
	v_add_f64 v[132:133], v[142:143], v[140:141]
	v_fma_f64 v[24:25], v[108:109], s[10:11], v[122:123]
	v_mul_f64 v[108:109], v[96:97], s[18:19]
	v_mul_f64 v[122:123], v[94:95], s[14:15]
	;; [unrolled: 1-line block ×3, first 2 shown]
	v_add_f64 v[144:145], v[146:147], v[144:145]
	v_fma_f64 v[138:139], v[130:131], s[4:5], v[90:91]
	v_fma_f64 v[90:91], v[130:131], s[18:19], v[90:91]
	;; [unrolled: 1-line block ×6, first 2 shown]
	v_add_f64 v[110:111], v[8:9], v[110:111]
	v_add_f64 v[12:13], v[12:13], v[34:35]
	v_fma_f64 v[34:35], v[130:131], s[14:15], v[134:135]
	v_fma_f64 v[134:135], v[86:87], s[10:11], v[136:137]
	;; [unrolled: 1-line block ×4, first 2 shown]
	v_add_f64 v[148:149], v[150:151], v[148:149]
	v_add_f64 v[150:151], v[154:155], v[152:153]
	v_fma_f64 v[86:87], v[100:101], s[16:17], v[112:113]
	v_fma_f64 v[46:47], v[130:131], s[6:7], v[46:47]
	;; [unrolled: 1-line block ×3, first 2 shown]
	v_cmp_gt_u32_e64 s0, 15, v116
	v_fma_f64 v[156:157], v[24:25], s[20:21], v[108:109]
	v_fma_f64 v[158:159], v[20:21], s[22:23], v[122:123]
	;; [unrolled: 1-line block ×9, first 2 shown]
	v_add_f64 v[106:107], v[12:13], v[110:111]
	v_add_f64 v[112:113], v[110:111], -v[12:13]
	v_fma_f64 v[88:89], v[132:133], s[10:11], v[34:35]
	v_and_b32_e32 v12, 3, v102
	v_mul_u32_u24_e32 v13, 10, v116
	v_add_f64 v[108:109], v[134:135], v[86:87]
	v_add_f64 v[118:119], v[134:135], -v[86:87]
	v_fma_f64 v[34:35], v[132:133], s[10:11], v[46:47]
	v_mul_u32_u24_e32 v12, 0x1c2, v12
	v_add_f64 v[124:125], v[92:93], v[156:157]
	v_add_f64 v[110:111], v[84:85], v[158:159]
	v_add_f64 v[126:127], v[92:93], -v[156:157]
	v_add_f64 v[128:129], v[84:85], -v[158:159]
	v_fma_f64 v[90:91], v[144:145], s[10:11], v[130:131]
	v_fma_f64 v[46:47], v[144:145], s[10:11], v[138:139]
	;; [unrolled: 1-line block ×6, first 2 shown]
	v_add_f64 v[122:123], v[136:137], v[146:147]
	v_add_f64 v[120:121], v[136:137], -v[146:147]
	v_lshl_add_u32 v13, v13, 3, 0
	v_lshl_add_u32 v102, v12, 3, v13
	ds_write_b128 v102, v[106:109]
	ds_write_b128 v102, v[122:125] offset:16
	ds_write_b128 v102, v[110:113] offset:32
	;; [unrolled: 1-line block ×4, first 2 shown]
	s_and_saveexec_b32 s1, s0
	s_cbranch_execz .LBB0_15
; %bb.14:
	v_add_f64 v[106:107], v[66:67], v[74:75]
	v_add_f64 v[108:109], v[58:59], v[42:43]
	v_add_f64 v[110:111], v[44:45], -v[60:61]
	v_add_f64 v[112:113], v[42:43], v[26:27]
	v_add_f64 v[30:31], v[54:55], v[30:31]
	v_add_f64 v[54:55], v[76:77], -v[68:69]
	v_add_f64 v[118:119], v[58:59], -v[66:67]
	;; [unrolled: 1-line block ×3, first 2 shown]
	v_mul_f64 v[132:133], v[82:83], s[14:15]
	v_mul_f64 v[128:129], v[92:93], s[18:19]
	;; [unrolled: 1-line block ×4, first 2 shown]
	v_fma_f64 v[106:107], v[106:107], -0.5, v[26:27]
	v_fma_f64 v[26:27], v[108:109], -0.5, v[26:27]
	v_add_f64 v[108:109], v[42:43], -v[74:75]
	v_add_f64 v[112:113], v[74:75], v[112:113]
	v_add_f64 v[30:31], v[78:79], v[30:31]
	v_add_f64 v[78:79], v[66:67], -v[58:59]
	v_fma_f64 v[134:135], v[46:47], s[20:21], v[128:129]
	v_fma_f64 v[122:123], v[110:111], s[4:5], v[106:107]
	;; [unrolled: 1-line block ×5, first 2 shown]
	v_add_f64 v[108:109], v[118:119], v[108:109]
	v_add_f64 v[112:113], v[66:67], v[112:113]
	v_add_f64 v[30:31], v[70:71], v[30:31]
	v_add_f64 v[70:71], v[78:79], v[120:121]
	v_fma_f64 v[78:79], v[54:55], s[6:7], v[122:123]
	v_fma_f64 v[54:55], v[54:55], s[14:15], v[106:107]
	;; [unrolled: 1-line block ×5, first 2 shown]
	v_add_f64 v[110:111], v[58:59], v[112:113]
	v_add_f64 v[30:31], v[62:63], v[30:31]
	v_fma_f64 v[62:63], v[88:89], s[16:17], v[132:133]
	v_fma_f64 v[106:107], v[34:35], s[22:23], v[126:127]
	;; [unrolled: 1-line block ×6, first 2 shown]
	v_add_f64 v[108:109], v[110:111], -v[30:31]
	v_add_f64 v[110:111], v[30:31], v[110:111]
	v_add_f64 v[120:121], v[78:79], -v[106:107]
	v_add_f64 v[112:113], v[54:55], v[62:63]
	v_add_f64 v[126:127], v[118:119], v[122:123]
	;; [unrolled: 1-line block ×4, first 2 shown]
	v_add_f64 v[124:125], v[118:119], -v[122:123]
	v_add_f64 v[122:123], v[54:55], -v[62:63]
	;; [unrolled: 1-line block ×3, first 2 shown]
	ds_write_b128 v102, v[110:113] offset:2400
	ds_write_b128 v102, v[126:129] offset:2416
	;; [unrolled: 1-line block ×5, first 2 shown]
.LBB0_15:
	s_or_b32 exec_lo, exec_lo, s1
	v_add_f64 v[26:27], v[40:41], v[52:53]
	v_add_f64 v[30:31], v[10:11], v[18:19]
	v_add_f64 v[54:55], v[18:19], v[2:3]
	v_add_f64 v[8:9], v[16:17], -v[8:9]
	v_add_f64 v[6:7], v[22:23], v[6:7]
	v_add_f64 v[16:17], v[50:51], -v[38:39]
	v_mul_f64 v[62:63], v[98:99], s[4:5]
	v_mul_f64 v[70:71], v[96:97], s[10:11]
	;; [unrolled: 1-line block ×3, first 2 shown]
	v_lshlrev_b32_e32 v13, 3, v116
	v_lshlrev_b32_e32 v123, 3, v12
	s_waitcnt lgkmcnt(0)
	s_barrier
	buffer_gl0_inv
	v_add_nc_u32_e32 v120, 30, v116
	v_add3_u32 v118, 0, v123, v13
	v_fma_f64 v[22:23], v[26:27], -0.5, v[2:3]
	v_fma_f64 v[2:3], v[30:31], -0.5, v[2:3]
	v_add_f64 v[26:27], v[18:19], -v[52:53]
	v_add_f64 v[30:31], v[10:11], -v[40:41]
	v_add_f64 v[38:39], v[52:53], v[54:55]
	v_add_f64 v[6:7], v[48:49], v[6:7]
	v_add_f64 v[18:19], v[52:53], -v[18:19]
	v_add_f64 v[48:49], v[40:41], -v[10:11]
	v_mul_f64 v[54:55], v[100:101], s[6:7]
	v_fma_f64 v[24:25], v[24:25], s[4:5], -v[70:71]
	v_fma_f64 v[20:21], v[20:21], s[6:7], -v[78:79]
	v_fma_f64 v[50:51], v[8:9], s[4:5], v[22:23]
	v_fma_f64 v[52:53], v[16:17], s[18:19], v[2:3]
	;; [unrolled: 1-line block ×4, first 2 shown]
	v_add_f64 v[26:27], v[30:31], v[26:27]
	v_add_f64 v[30:31], v[40:41], v[38:39]
	v_add_f64 v[6:7], v[36:37], v[6:7]
	v_add_f64 v[18:19], v[48:49], v[18:19]
	v_fma_f64 v[36:37], v[16:17], s[6:7], v[50:51]
	v_fma_f64 v[38:39], v[8:9], s[6:7], v[52:53]
	;; [unrolled: 1-line block ×6, first 2 shown]
	v_add_f64 v[30:31], v[10:11], v[30:31]
	v_add_f64 v[40:41], v[14:15], v[6:7]
	v_add_nc_u32_e32 v0, 0, v13
	v_add_nc_u32_e32 v119, v0, v123
	ds_read_b64 v[106:107], v118
	ds_read2_b64 v[12:15], v119 offset0:90 offset1:120
	ds_read2_b64 v[4:7], v119 offset0:150 offset1:180
	v_add_nc_u32_e32 v122, 0x800, v119
	v_fma_f64 v[62:63], v[26:27], s[10:11], v[36:37]
	v_fma_f64 v[70:71], v[18:19], s[10:11], v[38:39]
	;; [unrolled: 1-line block ×4, first 2 shown]
	ds_read2_b64 v[0:3], v119 offset0:30 offset1:60
	ds_read2_b64 v[8:11], v119 offset0:210 offset1:240
	v_add_f64 v[36:37], v[40:41], v[30:31]
	v_add_f64 v[50:51], v[30:31], -v[40:41]
	v_add_f64 v[38:39], v[62:63], v[16:17]
	v_add_f64 v[52:53], v[70:71], v[22:23]
	;; [unrolled: 1-line block ×4, first 2 shown]
	v_add_f64 v[94:95], v[62:63], -v[16:17]
	v_add_f64 v[96:97], v[70:71], -v[22:23]
	;; [unrolled: 1-line block ×4, first 2 shown]
	ds_read2_b64 v[24:27], v122 offset0:14 offset1:44
	ds_read2_b64 v[16:19], v122 offset0:74 offset1:104
	;; [unrolled: 1-line block ×3, first 2 shown]
	s_waitcnt lgkmcnt(0)
	s_barrier
	buffer_gl0_inv
	ds_write_b128 v102, v[36:39]
	ds_write_b128 v102, v[52:55] offset:16
	ds_write_b128 v102, v[48:51] offset:32
	;; [unrolled: 1-line block ×4, first 2 shown]
	s_and_saveexec_b32 s1, s0
	s_cbranch_execz .LBB0_17
; %bb.16:
	v_add_f64 v[30:31], v[68:69], v[76:77]
	v_add_f64 v[36:37], v[60:61], v[44:45]
	;; [unrolled: 1-line block ×3, first 2 shown]
	v_add_f64 v[40:41], v[42:43], -v[58:59]
	v_add_f64 v[32:33], v[56:57], v[32:33]
	v_add_f64 v[42:43], v[74:75], -v[66:67]
	s_mov_b32 s4, 0x134454ff
	s_mov_b32 s5, 0x3fee6f0e
	;; [unrolled: 1-line block ×4, first 2 shown]
	v_add_f64 v[48:49], v[60:61], -v[68:69]
	v_add_f64 v[50:51], v[68:69], -v[60:61]
	s_mov_b32 s15, 0xbfe2cf23
	v_mul_f64 v[58:59], v[90:91], s[4:5]
	v_mul_f64 v[62:63], v[92:93], s[10:11]
	;; [unrolled: 1-line block ×3, first 2 shown]
	v_fma_f64 v[30:31], v[30:31], -0.5, v[28:29]
	v_fma_f64 v[28:29], v[36:37], -0.5, v[28:29]
	v_add_f64 v[36:37], v[44:45], -v[76:77]
	v_add_f64 v[38:39], v[76:77], v[38:39]
	v_add_f64 v[32:33], v[80:81], v[32:33]
	v_add_f64 v[44:45], v[76:77], -v[44:45]
	v_fma_f64 v[46:47], v[46:47], s[4:5], -v[62:63]
	v_fma_f64 v[52:53], v[40:41], s[4:5], v[30:31]
	v_fma_f64 v[54:55], v[42:43], s[6:7], v[28:29]
	;; [unrolled: 1-line block ×4, first 2 shown]
	s_mov_b32 s6, 0x4755a5e
	s_mov_b32 s7, 0x3fe2cf23
	;; [unrolled: 1-line block ×3, first 2 shown]
	v_mul_f64 v[56:57], v[88:89], s[6:7]
	v_add_f64 v[36:37], v[48:49], v[36:37]
	v_add_f64 v[38:39], v[68:69], v[38:39]
	;; [unrolled: 1-line block ×4, first 2 shown]
	v_fma_f64 v[48:49], v[42:43], s[6:7], v[52:53]
	v_fma_f64 v[50:51], v[40:41], s[6:7], v[54:55]
	;; [unrolled: 1-line block ×5, first 2 shown]
	v_fma_f64 v[52:53], v[34:35], s[6:7], -v[66:67]
	v_fma_f64 v[40:41], v[82:83], s[16:17], v[56:57]
	v_add_f64 v[38:39], v[60:61], v[38:39]
	v_add_f64 v[32:33], v[64:65], v[32:33]
	v_fma_f64 v[48:49], v[36:37], s[10:11], v[48:49]
	v_fma_f64 v[50:51], v[44:45], s[10:11], v[50:51]
	;; [unrolled: 1-line block ×4, first 2 shown]
	v_add_f64 v[28:29], v[32:33], v[38:39]
	v_add_f64 v[34:35], v[38:39], -v[32:33]
	v_add_f64 v[30:31], v[48:49], v[40:41]
	v_add_f64 v[36:37], v[50:51], v[42:43]
	;; [unrolled: 1-line block ×4, first 2 shown]
	v_add_f64 v[40:41], v[48:49], -v[40:41]
	v_add_f64 v[42:43], v[50:51], -v[42:43]
	;; [unrolled: 1-line block ×4, first 2 shown]
	v_mul_u32_u24_e32 v48, 10, v120
	v_lshlrev_b32_e32 v48, 3, v48
	v_add3_u32 v48, 0, v48, v123
	ds_write_b128 v48, v[28:31]
	ds_write_b128 v48, v[36:39] offset:16
	ds_write_b128 v48, v[32:35] offset:32
	;; [unrolled: 1-line block ×4, first 2 shown]
.LBB0_17:
	s_or_b32 exec_lo, exec_lo, s1
	v_and_b32_e32 v28, 0xff, v120
	v_add_nc_u32_e32 v121, 60, v116
	v_and_b32_e32 v29, 0xff, v116
	v_mov_b32_e32 v36, 6
	s_waitcnt lgkmcnt(0)
	v_mul_lo_u16 v28, 0xcd, v28
	s_barrier
	v_mul_lo_u16 v29, 0xcd, v29
	buffer_gl0_inv
	v_add_nc_u32_e32 v124, 0x78, v116
	v_lshrrev_b16 v126, 11, v28
	v_and_b32_e32 v28, 0xff, v121
	v_lshrrev_b16 v128, 11, v29
	v_and_b32_e32 v132, 0xff, v114
	v_subrev_nc_u32_e32 v110, 20, v116
	v_mul_lo_u16 v29, v126, 10
	v_mul_lo_u16 v28, 0xcd, v28
	;; [unrolled: 1-line block ×3, first 2 shown]
	v_cmp_gt_u32_e64 s0, 20, v116
	v_lshlrev_b32_e32 v108, 1, v116
	v_sub_nc_u16 v125, v120, v29
	v_lshrrev_b16 v129, 11, v28
	v_sub_nc_u16 v127, v116, v30
	v_mov_b32_e32 v109, 0
	v_mul_lo_u16 v134, v132, 41
	v_lshlrev_b32_sdwa v37, v36, v125 dst_sel:DWORD dst_unused:UNUSED_PAD src0_sel:DWORD src1_sel:BYTE_0
	v_mul_lo_u16 v32, v129, 10
	v_lshlrev_b32_sdwa v38, v36, v127 dst_sel:DWORD dst_unused:UNUSED_PAD src0_sel:DWORD src1_sel:BYTE_0
	v_and_b32_e32 v135, 0xff, v124
	v_cndmask_b32_e64 v179, v110, v120, s0
	s_clause 0x1
	global_load_dwordx4 v[72:75], v37, s[8:9] offset:16
	global_load_dwordx4 v[28:31], v37, s[8:9]
	v_sub_nc_u16 v130, v121, v32
	s_clause 0x5
	global_load_dwordx4 v[48:51], v38, s[8:9]
	global_load_dwordx4 v[32:35], v38, s[8:9] offset:32
	global_load_dwordx4 v[52:55], v38, s[8:9] offset:16
	;; [unrolled: 1-line block ×5, first 2 shown]
	v_lshlrev_b64 v[110:111], 4, v[108:109]
	v_add_nc_u32_e32 v108, 20, v108
	v_lshrrev_b16 v180, 11, v134
	v_lshlrev_b32_sdwa v36, v36, v130 dst_sel:DWORD dst_unused:UNUSED_PAD src0_sel:DWORD src1_sel:BYTE_0
	v_mul_lo_u16 v136, v135, 41
	v_and_b32_e32 v126, 0xffff, v126
	v_mov_b32_e32 v133, v109
	s_clause 0x3
	global_load_dwordx4 v[56:59], v36, s[8:9] offset:16
	global_load_dwordx4 v[44:47], v36, s[8:9]
	global_load_dwordx4 v[40:43], v36, s[8:9] offset:32
	global_load_dwordx4 v[36:39], v36, s[8:9] offset:48
	ds_read2_b64 v[76:79], v119 offset0:210 offset1:240
	ds_read2_b64 v[84:87], v119 offset0:90 offset1:120
	;; [unrolled: 1-line block ×6, first 2 shown]
	v_lshlrev_b32_e32 v132, 1, v179
	v_mov_b32_e32 v131, 3
	v_lshlrev_b64 v[134:135], 4, v[108:109]
	v_and_b32_e32 v108, 0xffff, v128
	v_lshrrev_b16 v128, 11, v136
	v_mul_lo_u16 v136, v180, 50
	v_mad_u32_u24 v137, 0x190, v126, 0
	v_and_b32_e32 v126, 0xffff, v129
	v_lshlrev_b64 v[132:133], 4, v[132:133]
	v_add_co_u32 v110, s0, s8, v110
	v_sub_nc_u16 v181, v114, v136
	v_lshlrev_b32_sdwa v129, v131, v125 dst_sel:DWORD dst_unused:UNUSED_PAD src0_sel:DWORD src1_sel:BYTE_0
	v_mad_u32_u24 v136, 0x190, v126, 0
	v_lshlrev_b32_sdwa v130, v131, v130 dst_sel:DWORD dst_unused:UNUSED_PAD src0_sel:DWORD src1_sel:BYTE_0
	v_mad_u32_u24 v108, 0x190, v108, 0
	v_mul_lo_u16 v128, v128, 50
	v_lshlrev_b32_sdwa v127, v131, v127 dst_sel:DWORD dst_unused:UNUSED_PAD src0_sel:DWORD src1_sel:BYTE_0
	v_add_co_ci_u32_e64 v111, s0, s9, v111, s0
	v_add_co_u32 v125, s0, s8, v132
	v_add_co_ci_u32_e64 v126, s0, s9, v133, s0
	v_add3_u32 v183, v137, v129, v123
	v_add3_u32 v184, v136, v130, v123
	v_sub_nc_u16 v182, v124, v128
	v_add3_u32 v108, v108, v127, v123
	ds_read_b64 v[112:113], v118
	ds_read2_b64 v[88:91], v119 offset0:30 offset1:60
	s_mov_b32 s10, 0x134454ff
	s_mov_b32 s11, 0xbfee6f0e
	;; [unrolled: 1-line block ×10, first 2 shown]
	v_mov_b32_e32 v178, 5
	s_waitcnt vmcnt(0) lgkmcnt(0)
	s_barrier
	buffer_gl0_inv
	v_mul_f64 v[132:133], v[84:85], v[50:51]
	v_mul_f64 v[136:137], v[80:81], v[34:35]
	;; [unrolled: 1-line block ×24, first 2 shown]
	v_fma_f64 v[12:13], v[12:13], v[48:49], v[132:133]
	v_fma_f64 v[24:25], v[24:25], v[32:33], v[136:137]
	;; [unrolled: 1-line block ×3, first 2 shown]
	v_fma_f64 v[48:49], v[84:85], v[48:49], -v[50:51]
	v_fma_f64 v[50:51], v[98:99], v[52:53], -v[54:55]
	;; [unrolled: 1-line block ×4, first 2 shown]
	v_fma_f64 v[8:9], v[8:9], v[72:73], v[127:128]
	v_fma_f64 v[72:73], v[76:77], v[72:73], -v[74:75]
	v_fma_f64 v[14:15], v[14:15], v[28:29], v[129:130]
	v_fma_f64 v[26:27], v[26:27], v[68:69], v[140:141]
	;; [unrolled: 1-line block ×4, first 2 shown]
	v_fma_f64 v[28:29], v[86:87], v[28:29], -v[30:31]
	v_fma_f64 v[30:31], v[82:83], v[68:69], -v[70:71]
	;; [unrolled: 1-line block ×3, first 2 shown]
	v_fma_f64 v[10:11], v[10:11], v[56:57], v[146:147]
	v_fma_f64 v[4:5], v[4:5], v[44:45], v[148:149]
	;; [unrolled: 1-line block ×4, first 2 shown]
	v_fma_f64 v[44:45], v[96:97], v[44:45], -v[46:47]
	v_fma_f64 v[52:53], v[78:79], v[56:57], -v[58:59]
	;; [unrolled: 1-line block ×4, first 2 shown]
	v_add_f64 v[38:39], v[106:107], v[12:13]
	v_add_f64 v[42:43], v[6:7], v[24:25]
	v_add_f64 v[74:75], v[48:49], -v[50:51]
	v_add_f64 v[102:103], v[50:51], v[32:33]
	v_add_f64 v[76:77], v[34:35], -v[32:33]
	;; [unrolled: 2-line block ×3, first 2 shown]
	v_add_f64 v[78:79], v[50:51], -v[48:49]
	v_add_f64 v[54:55], v[8:9], v[26:27]
	v_add_f64 v[58:59], v[18:19], -v[24:25]
	v_add_f64 v[56:57], v[14:15], v[20:21]
	v_add_f64 v[60:61], v[12:13], v[18:19]
	;; [unrolled: 1-line block ×4, first 2 shown]
	v_add_f64 v[80:81], v[32:33], -v[34:35]
	v_add_f64 v[82:83], v[0:1], v[14:15]
	v_add_f64 v[98:99], v[88:89], v[28:29]
	;; [unrolled: 1-line block ×7, first 2 shown]
	v_add_f64 v[68:69], v[6:7], -v[12:13]
	v_add_f64 v[70:71], v[24:25], -v[18:19]
	;; [unrolled: 1-line block ×4, first 2 shown]
	v_add_f64 v[150:151], v[52:53], v[40:41]
	v_add_f64 v[152:153], v[44:45], v[36:37]
	v_add_f64 v[48:49], v[48:49], -v[34:35]
	v_add_f64 v[138:139], v[6:7], -v[24:25]
	;; [unrolled: 1-line block ×4, first 2 shown]
	v_fma_f64 v[42:43], v[42:43], -0.5, v[106:107]
	v_add_f64 v[6:7], v[38:39], v[6:7]
	v_add_f64 v[38:39], v[74:75], v[76:77]
	;; [unrolled: 1-line block ×3, first 2 shown]
	v_fma_f64 v[74:75], v[102:103], -0.5, v[112:113]
	v_add_f64 v[92:93], v[8:9], -v[14:15]
	v_add_f64 v[96:97], v[28:29], -v[72:73]
	v_add_f64 v[100:101], v[64:65], -v[30:31]
	v_add_f64 v[129:130], v[72:73], -v[28:29]
	v_add_f64 v[28:29], v[28:29], -v[64:65]
	v_add_f64 v[142:143], v[72:73], -v[30:31]
	v_add_f64 v[144:145], v[8:9], -v[26:27]
	v_fma_f64 v[54:55], v[54:55], -0.5, v[0:1]
	v_fma_f64 v[0:1], v[56:57], -0.5, v[0:1]
	;; [unrolled: 1-line block ×4, first 2 shown]
	v_add_f64 v[46:47], v[46:47], v[58:59]
	v_fma_f64 v[58:59], v[60:61], -0.5, v[106:107]
	v_add_f64 v[66:67], v[78:79], v[80:81]
	v_add_f64 v[8:9], v[82:83], v[8:9]
	v_fma_f64 v[78:79], v[127:128], -0.5, v[112:113]
	v_add_f64 v[72:73], v[98:99], v[72:73]
	v_add_f64 v[14:15], v[14:15], -v[20:21]
	v_add_f64 v[158:159], v[4:5], -v[10:11]
	;; [unrolled: 1-line block ×8, first 2 shown]
	v_fma_f64 v[82:83], v[146:147], -0.5, v[2:3]
	v_fma_f64 v[2:3], v[148:149], -0.5, v[2:3]
	v_add_f64 v[10:11], v[154:155], v[10:11]
	v_add_f64 v[52:53], v[156:157], v[52:53]
	v_add_f64 v[4:5], v[4:5], -v[22:23]
	v_add_f64 v[60:61], v[68:69], v[70:71]
	v_add_f64 v[68:69], v[84:85], v[86:87]
	v_fma_f64 v[84:85], v[150:151], -0.5, v[90:91]
	v_fma_f64 v[86:87], v[152:153], -0.5, v[90:91]
	v_add_f64 v[6:7], v[6:7], v[24:25]
	v_fma_f64 v[24:25], v[48:49], s[10:11], v[42:43]
	v_add_f64 v[32:33], v[50:51], v[32:33]
	v_fma_f64 v[50:51], v[12:13], s[16:17], v[74:75]
	v_add_f64 v[94:95], v[26:27], -v[20:21]
	v_add_f64 v[132:133], v[30:31], -v[64:65]
	v_add_f64 v[76:77], v[96:97], v[100:101]
	v_fma_f64 v[42:43], v[48:49], s[16:17], v[42:43]
	v_fma_f64 v[96:97], v[140:141], s[16:17], v[58:59]
	;; [unrolled: 1-line block ×4, first 2 shown]
	v_add_f64 v[8:9], v[8:9], v[26:27]
	v_fma_f64 v[26:27], v[138:139], s[10:11], v[78:79]
	v_fma_f64 v[78:79], v[138:139], s[16:17], v[78:79]
	v_add_f64 v[30:31], v[72:73], v[30:31]
	v_fma_f64 v[72:73], v[28:29], s[10:11], v[54:55]
	v_fma_f64 v[54:55], v[28:29], s[16:17], v[54:55]
	;; [unrolled: 1-line block ×3, first 2 shown]
	v_add_f64 v[160:161], v[22:23], -v[16:17]
	v_add_f64 v[164:165], v[16:17], -v[22:23]
	;; [unrolled: 1-line block ×4, first 2 shown]
	v_fma_f64 v[0:1], v[142:143], s[10:11], v[0:1]
	v_fma_f64 v[100:101], v[14:15], s[16:17], v[56:57]
	v_add_f64 v[10:11], v[10:11], v[16:17]
	v_add_f64 v[16:17], v[52:53], v[40:41]
	v_fma_f64 v[40:41], v[44:45], s[10:11], v[82:83]
	v_fma_f64 v[52:53], v[174:175], s[16:17], v[2:3]
	;; [unrolled: 1-line block ×11, first 2 shown]
	v_add_f64 v[6:7], v[6:7], v[18:19]
	v_fma_f64 v[18:19], v[140:141], s[6:7], v[24:25]
	v_add_f64 v[32:33], v[32:33], v[34:35]
	v_fma_f64 v[34:35], v[138:139], s[14:15], v[50:51]
	;; [unrolled: 2-line block ×3, first 2 shown]
	v_fma_f64 v[42:43], v[48:49], s[6:7], v[96:97]
	v_fma_f64 v[48:49], v[48:49], s[14:15], v[58:59]
	;; [unrolled: 1-line block ×7, first 2 shown]
	v_add_f64 v[8:9], v[8:9], v[20:21]
	v_fma_f64 v[20:21], v[142:143], s[6:7], v[72:73]
	v_fma_f64 v[0:1], v[28:29], s[14:15], v[0:1]
	;; [unrolled: 1-line block ×5, first 2 shown]
	v_add_f64 v[80:81], v[129:130], v[132:133]
	v_add_f64 v[30:31], v[30:31], v[64:65]
	v_fma_f64 v[64:65], v[14:15], s[14:15], v[102:103]
	v_fma_f64 v[14:15], v[14:15], s[6:7], v[62:63]
	;; [unrolled: 1-line block ×3, first 2 shown]
	v_add_f64 v[88:89], v[158:159], v[160:161]
	v_add_f64 v[92:93], v[166:167], v[168:169]
	;; [unrolled: 1-line block ×3, first 2 shown]
	v_fma_f64 v[22:23], v[176:177], s[14:15], v[106:107]
	v_add_f64 v[90:91], v[162:163], v[164:165]
	v_add_f64 v[94:95], v[170:171], v[172:173]
	v_fma_f64 v[2:3], v[44:45], s[14:15], v[2:3]
	v_fma_f64 v[72:73], v[4:5], s[14:15], v[112:113]
	;; [unrolled: 1-line block ×22, first 2 shown]
	v_add_f64 v[36:37], v[16:17], v[36:37]
	v_fma_f64 v[66:67], v[92:93], s[4:5], v[22:23]
	v_fma_f64 v[40:41], v[90:91], s[4:5], v[40:41]
	v_fma_f64 v[2:3], v[90:91], s[4:5], v[2:3]
	v_fma_f64 v[68:69], v[94:95], s[4:5], v[72:73]
	v_fma_f64 v[70:71], v[94:95], s[4:5], v[4:5]
	v_fma_f64 v[44:45], v[88:89], s[4:5], v[44:45]
	v_fma_f64 v[62:63], v[92:93], s[4:5], v[62:63]
	ds_write2_b64 v108, v[6:7], v[18:19] offset1:10
	ds_write2_b64 v108, v[42:43], v[46:47] offset0:20 offset1:30
	ds_write_b64 v108, v[24:25] offset:320
	ds_write2_b64 v183, v[8:9], v[20:21] offset1:10
	ds_write2_b64 v183, v[54:55], v[0:1] offset0:20 offset1:30
	ds_write_b64 v183, v[48:49] offset:320
	;; [unrolled: 3-line block ×3, first 2 shown]
	s_waitcnt lgkmcnt(0)
	s_barrier
	buffer_gl0_inv
	ds_read_b64 v[96:97], v118
	ds_read2_b64 v[0:3], v119 offset0:150 offset1:180
	ds_read2_b64 v[4:7], v122 offset0:14 offset1:44
	;; [unrolled: 1-line block ×7, first 2 shown]
	s_waitcnt lgkmcnt(0)
	s_barrier
	buffer_gl0_inv
	ds_write2_b64 v108, v[32:33], v[34:35] offset1:10
	ds_write2_b64 v108, v[50:51], v[58:59] offset0:20 offset1:30
	ds_write_b64 v108, v[38:39] offset:320
	ds_write2_b64 v183, v[30:31], v[52:53] offset1:10
	ds_write2_b64 v183, v[60:61], v[64:65] offset0:20 offset1:30
	ds_write_b64 v183, v[56:57] offset:320
	;; [unrolled: 3-line block ×3, first 2 shown]
	s_waitcnt lgkmcnt(0)
	s_barrier
	buffer_gl0_inv
	s_clause 0x1
	global_load_dwordx4 v[28:31], v[110:111], off offset:640
	global_load_dwordx4 v[32:35], v[110:111], off offset:656
	v_add_co_u32 v48, s0, s8, v134
	s_clause 0x1
	global_load_dwordx4 v[36:39], v[125:126], off offset:640
	global_load_dwordx4 v[40:43], v[125:126], off offset:656
	v_add_co_ci_u32_e64 v49, s0, s9, v135, s0
	v_lshlrev_b32_sdwa v56, v178, v181 dst_sel:DWORD dst_unused:UNUSED_PAD src0_sel:DWORD src1_sel:BYTE_0
	v_lshlrev_b32_sdwa v64, v178, v182 dst_sel:DWORD dst_unused:UNUSED_PAD src0_sel:DWORD src1_sel:BYTE_0
	s_clause 0x5
	global_load_dwordx4 v[44:47], v[48:49], off offset:640
	global_load_dwordx4 v[48:51], v[48:49], off offset:656
	global_load_dwordx4 v[52:55], v56, s[8:9] offset:640
	global_load_dwordx4 v[56:59], v56, s[8:9] offset:656
	;; [unrolled: 1-line block ×4, first 2 shown]
	v_cmp_lt_u32_e64 s0, 19, v116
	ds_read2_b64 v[68:71], v119 offset0:150 offset1:180
	ds_read2_b64 v[72:75], v122 offset0:14 offset1:44
	v_and_b32_e32 v84, 0xffff, v180
	ds_read2_b64 v[80:83], v119 offset0:210 offset1:240
	v_lshlrev_b32_sdwa v89, v131, v182 dst_sel:DWORD dst_unused:UNUSED_PAD src0_sel:DWORD src1_sel:BYTE_0
	v_cndmask_b32_e64 v76, 0, 0x4b0, s0
	v_lshlrev_b32_sdwa v92, v131, v181 dst_sel:DWORD dst_unused:UNUSED_PAD src0_sel:DWORD src1_sel:BYTE_0
	v_mad_u32_u24 v91, 0x4b0, v84, 0
	ds_read2_b64 v[84:87], v122 offset0:134 offset1:164
	v_lshlrev_b32_e32 v90, 3, v179
	v_add_nc_u32_e32 v88, 0, v76
	ds_read2_b64 v[76:79], v122 offset0:74 offset1:104
	ds_read_b64 v[98:99], v118
	v_add3_u32 v108, 0, v89, v123
	s_mov_b32 s0, 0xe8584caa
	v_add3_u32 v137, v88, v90, v123
	v_add3_u32 v123, v91, v92, v123
	ds_read2_b64 v[88:91], v119 offset0:30 offset1:60
	ds_read2_b64 v[92:95], v119 offset0:90 offset1:120
	s_mov_b32 s1, 0xbfebb67a
	s_mov_b32 s5, 0x3febb67a
	;; [unrolled: 1-line block ×3, first 2 shown]
	v_add_nc_u32_e32 v138, 0x800, v108
	s_waitcnt vmcnt(0) lgkmcnt(0)
	s_barrier
	buffer_gl0_inv
	v_mul_f64 v[100:101], v[68:69], v[30:31]
	v_mul_f64 v[102:103], v[74:75], v[34:35]
	;; [unrolled: 1-line block ×20, first 2 shown]
	v_fma_f64 v[0:1], v[0:1], v[28:29], v[100:101]
	v_fma_f64 v[6:7], v[6:7], v[32:33], v[102:103]
	v_fma_f64 v[28:29], v[68:69], v[28:29], -v[30:31]
	v_fma_f64 v[30:31], v[74:75], v[32:33], -v[34:35]
	v_fma_f64 v[2:3], v[2:3], v[36:37], v[106:107]
	v_fma_f64 v[12:13], v[12:13], v[40:41], v[112:113]
	;; [unrolled: 1-line block ×8, first 2 shown]
	v_fma_f64 v[32:33], v[70:71], v[36:37], -v[38:39]
	v_fma_f64 v[34:35], v[76:77], v[40:41], -v[42:43]
	;; [unrolled: 1-line block ×8, first 2 shown]
	v_add_f64 v[48:49], v[96:97], v[0:1]
	v_add_f64 v[50:51], v[0:1], v[6:7]
	;; [unrolled: 1-line block ×3, first 2 shown]
	v_add_f64 v[52:53], v[28:29], -v[30:31]
	v_add_f64 v[28:29], v[28:29], v[30:31]
	v_add_f64 v[56:57], v[2:3], v[12:13]
	;; [unrolled: 1-line block ×9, first 2 shown]
	v_add_f64 v[62:63], v[32:33], -v[34:35]
	v_add_f64 v[32:33], v[32:33], v[34:35]
	v_add_f64 v[72:73], v[36:37], -v[38:39]
	v_add_f64 v[74:75], v[90:91], v[36:37]
	v_add_f64 v[36:37], v[36:37], v[38:39]
	;; [unrolled: 1-line block ×4, first 2 shown]
	v_add_f64 v[78:79], v[40:41], -v[42:43]
	v_add_f64 v[84:85], v[22:23], v[4:5]
	v_add_f64 v[0:1], v[0:1], -v[6:7]
	v_fma_f64 v[50:51], v[50:51], -0.5, v[96:97]
	v_add_f64 v[2:3], v[2:3], -v[12:13]
	v_add_f64 v[16:17], v[16:17], -v[14:15]
	v_add_f64 v[40:41], v[92:93], v[40:41]
	v_fma_f64 v[8:9], v[56:57], -0.5, v[8:9]
	v_add_f64 v[56:57], v[44:45], -v[46:47]
	v_fma_f64 v[10:11], v[60:61], -0.5, v[10:11]
	v_add_f64 v[18:19], v[18:19], -v[24:25]
	v_fma_f64 v[20:21], v[64:65], -0.5, v[20:21]
	v_add_f64 v[44:45], v[94:95], v[44:45]
	v_fma_f64 v[22:23], v[68:69], -0.5, v[22:23]
	v_add_f64 v[4:5], v[4:5], -v[26:27]
	v_add_f64 v[6:7], v[48:49], v[6:7]
	v_add_f64 v[30:31], v[54:55], v[30:31]
	v_fma_f64 v[28:29], v[28:29], -0.5, v[98:99]
	v_add_f64 v[12:13], v[58:59], v[12:13]
	v_fma_f64 v[32:33], v[32:33], -0.5, v[88:89]
	v_fma_f64 v[36:37], v[36:37], -0.5, v[90:91]
	;; [unrolled: 1-line block ×4, first 2 shown]
	v_add_f64 v[14:15], v[70:71], v[14:15]
	v_add_f64 v[24:25], v[76:77], v[24:25]
	v_fma_f64 v[58:59], v[52:53], s[0:1], v[50:51]
	v_fma_f64 v[50:51], v[52:53], s[4:5], v[50:51]
	v_add_f64 v[26:27], v[84:85], v[26:27]
	v_add_f64 v[34:35], v[66:67], v[34:35]
	v_fma_f64 v[52:53], v[62:63], s[0:1], v[8:9]
	v_fma_f64 v[8:9], v[62:63], s[4:5], v[8:9]
	;; [unrolled: 1-line block ×8, first 2 shown]
	v_add_f64 v[40:41], v[40:41], v[42:43]
	v_add_f64 v[42:43], v[44:45], v[46:47]
	v_fma_f64 v[44:45], v[0:1], s[4:5], v[28:29]
	v_fma_f64 v[28:29], v[0:1], s[0:1], v[28:29]
	;; [unrolled: 1-line block ×10, first 2 shown]
	ds_write2_b64 v119, v[6:7], v[58:59] offset1:50
	ds_write_b64 v119, v[50:51] offset:800
	ds_write2_b64 v137, v[12:13], v[52:53] offset1:50
	ds_write_b64 v137, v[8:9] offset:800
	ds_write2_b64 v119, v[14:15], v[60:61] offset0:160 offset1:210
	ds_write_b64 v119, v[10:11] offset:2080
	ds_write2_b64 v123, v[24:25], v[62:63] offset1:50
	ds_write_b64 v123, v[20:21] offset:800
	ds_write2_b64 v138, v[26:27], v[64:65] offset0:44 offset1:94
	ds_write_b64 v108, v[22:23] offset:3200
	s_waitcnt lgkmcnt(0)
	s_barrier
	buffer_gl0_inv
	ds_read_b64 v[80:81], v118
	ds_read2_b64 v[8:11], v119 offset0:150 offset1:180
	ds_read2_b64 v[24:27], v122 offset0:14 offset1:44
	;; [unrolled: 1-line block ×7, first 2 shown]
	v_add_f64 v[38:39], v[74:75], v[38:39]
	s_waitcnt lgkmcnt(0)
	s_barrier
	buffer_gl0_inv
	ds_write2_b64 v119, v[30:31], v[44:45] offset1:50
	ds_write_b64 v119, v[28:29] offset:800
	ds_write2_b64 v137, v[34:35], v[46:47] offset1:50
	ds_write_b64 v137, v[32:33] offset:800
	ds_write2_b64 v119, v[38:39], v[56:57] offset0:160 offset1:210
	ds_write_b64 v119, v[36:37] offset:2080
	ds_write2_b64 v123, v[40:41], v[66:67] offset1:50
	ds_write_b64 v123, v[48:49] offset:800
	ds_write2_b64 v138, v[42:43], v[68:69] offset0:44 offset1:94
	ds_write_b64 v108, v[54:55] offset:3200
	s_waitcnt lgkmcnt(0)
	s_barrier
	buffer_gl0_inv
	s_and_saveexec_b32 s6, vcc_lo
	s_cbranch_execz .LBB0_19
; %bb.18:
	v_lshlrev_b32_e32 v108, 1, v124
	v_add_nc_u32_e32 v96, 0x800, v119
	v_add_nc_u32_e32 v137, 0x96, v116
	v_mad_u64_u32 v[100:101], null, s2, v116, 0
	v_lshlrev_b64 v[28:29], 4, v[108:109]
	v_lshlrev_b32_e32 v108, 1, v114
	v_add_nc_u32_e32 v138, 0x12c, v116
	v_mad_u64_u32 v[102:103], null, s2, v120, 0
	v_mul_hi_u32 v133, 0x1b4e81b5, v124
	v_add_co_u32 v32, vcc_lo, s8, v28
	v_add_co_ci_u32_e32 v33, vcc_lo, s9, v29, vcc_lo
	v_lshlrev_b64 v[28:29], 4, v[108:109]
	v_add_co_u32 v30, vcc_lo, 0x8c0, v32
	v_add_co_ci_u32_e32 v31, vcc_lo, 0, v33, vcc_lo
	v_add_co_u32 v32, vcc_lo, 0x800, v32
	v_add_co_ci_u32_e32 v33, vcc_lo, 0, v33, vcc_lo
	;; [unrolled: 2-line block ×3, first 2 shown]
	v_lshlrev_b32_e32 v108, 1, v121
	v_add_co_u32 v36, vcc_lo, 0x8c0, v38
	v_add_co_ci_u32_e32 v37, vcc_lo, 0, v39, vcc_lo
	v_add_co_u32 v38, vcc_lo, 0x800, v38
	v_add_co_ci_u32_e32 v39, vcc_lo, 0, v39, vcc_lo
	v_lshlrev_b64 v[52:53], 4, v[108:109]
	v_add_co_u32 v48, vcc_lo, 0x800, v110
	v_add_co_ci_u32_e32 v49, vcc_lo, 0, v111, vcc_lo
	v_add_co_u32 v54, vcc_lo, 0x8c0, v110
	v_lshlrev_b32_e32 v108, 1, v120
	v_add_co_ci_u32_e32 v55, vcc_lo, 0, v111, vcc_lo
	v_add_co_u32 v52, vcc_lo, s8, v52
	s_clause 0x3
	global_load_dwordx4 v[32:35], v[32:33], off offset:192
	global_load_dwordx4 v[28:31], v[30:31], off offset:16
	;; [unrolled: 1-line block ×4, first 2 shown]
	v_add_co_ci_u32_e32 v53, vcc_lo, s9, v53, vcc_lo
	v_lshlrev_b64 v[36:37], 4, v[108:109]
	v_add_co_u32 v38, vcc_lo, 0x8c0, v52
	v_add_co_ci_u32_e32 v39, vcc_lo, 0, v53, vcc_lo
	s_clause 0x1
	global_load_dwordx4 v[48:51], v[48:49], off offset:192
	global_load_dwordx4 v[56:59], v[54:55], off offset:16
	v_add_co_u32 v54, vcc_lo, s8, v36
	v_add_co_ci_u32_e32 v55, vcc_lo, s9, v37, vcc_lo
	v_add_co_u32 v36, vcc_lo, 0x800, v52
	v_add_co_ci_u32_e32 v37, vcc_lo, 0, v53, vcc_lo
	;; [unrolled: 2-line block ×4, first 2 shown]
	s_clause 0x3
	global_load_dwordx4 v[68:71], v[36:37], off offset:192
	global_load_dwordx4 v[52:55], v[38:39], off offset:16
	;; [unrolled: 1-line block ×4, first 2 shown]
	ds_read2_b64 v[36:39], v119 offset0:90 offset1:120
	ds_read2_b64 v[76:79], v119 offset0:210 offset1:240
	;; [unrolled: 1-line block ×4, first 2 shown]
	ds_read_b64 v[112:113], v118
	ds_read2_b64 v[88:91], v96 offset0:14 offset1:44
	ds_read2_b64 v[92:95], v96 offset0:134 offset1:164
	;; [unrolled: 1-line block ×3, first 2 shown]
	v_add_co_u32 v82, vcc_lo, s12, v104
	v_add_nc_u32_e32 v139, 0x14a, v116
	v_add_co_ci_u32_e32 v83, vcc_lo, s13, v105, vcc_lo
	v_mad_u64_u32 v[104:105], null, s2, v117, 0
	v_mad_u64_u32 v[118:119], null, s2, v137, 0
	v_add_nc_u32_e32 v140, 0xd2, v116
	v_mad_u64_u32 v[122:123], null, s2, v138, 0
	v_mad_u64_u32 v[106:107], null, s2, v121, 0
	;; [unrolled: 1-line block ×3, first 2 shown]
	v_add_nc_u32_e32 v141, 0xf0, v116
	v_add_nc_u32_e32 v142, 0x186, v116
	v_lshrrev_b32_e32 v143, 4, v133
	v_mad_u64_u32 v[133:134], null, s3, v116, v[101:102]
	v_mad_u64_u32 v[108:109], null, s2, v115, 0
	;; [unrolled: 1-line block ×4, first 2 shown]
	v_mov_b32_e32 v101, v119
	v_mad_u64_u32 v[119:120], null, s3, v120, v[103:104]
	v_mad_u64_u32 v[129:130], null, s2, v141, 0
	;; [unrolled: 1-line block ×3, first 2 shown]
	v_mov_b32_e32 v116, v123
	v_mad_u64_u32 v[134:135], null, s3, v117, v[105:106]
	v_mov_b32_e32 v103, v126
	v_mad_u32_u24 v143, 0x12c, v143, v124
	v_mad_u64_u32 v[123:124], null, s3, v137, v[101:102]
	v_mov_b32_e32 v101, v133
	v_mad_u64_u32 v[120:121], null, s3, v121, v[107:108]
	v_mov_b32_e32 v105, v128
	v_mad_u64_u32 v[135:136], null, s3, v115, v[109:110]
	s_waitcnt lgkmcnt(3)
	v_mad_u64_u32 v[114:115], null, s3, v114, v[111:112]
	v_mad_u64_u32 v[115:116], null, s3, v138, v[116:117]
	;; [unrolled: 1-line block ×3, first 2 shown]
	v_mov_b32_e32 v103, v119
	v_mov_b32_e32 v107, v130
	;; [unrolled: 1-line block ×3, first 2 shown]
	v_lshlrev_b64 v[100:101], 4, v[100:101]
	v_mad_u64_u32 v[136:137], null, s3, v140, v[105:106]
	v_mov_b32_e32 v105, v134
	v_lshlrev_b64 v[102:103], 4, v[102:103]
	v_mad_u64_u32 v[137:138], null, s3, v141, v[107:108]
	v_mov_b32_e32 v107, v120
	v_mad_u64_u32 v[138:139], null, s3, v142, v[109:110]
	v_mad_u64_u32 v[139:140], null, s2, v143, 0
	v_add_nc_u32_e32 v141, 0x96, v143
	v_lshlrev_b64 v[104:105], 4, v[104:105]
	v_add_co_u32 v100, vcc_lo, v82, v100
	v_mov_b32_e32 v109, v135
	v_mov_b32_e32 v119, v123
	v_add_co_ci_u32_e32 v101, vcc_lo, v83, v101, vcc_lo
	v_lshlrev_b64 v[106:107], 4, v[106:107]
	v_add_co_u32 v102, vcc_lo, v82, v102
	v_mov_b32_e32 v111, v114
	v_mad_u64_u32 v[120:121], null, s2, v141, 0
	v_add_co_ci_u32_e32 v103, vcc_lo, v83, v103, vcc_lo
	v_lshlrev_b64 v[108:109], 4, v[108:109]
	v_add_co_u32 v104, vcc_lo, v82, v104
	v_mov_b32_e32 v123, v115
	v_mov_b32_e32 v126, v116
	v_lshlrev_b64 v[115:116], 4, v[118:119]
	v_add_nc_u32_e32 v142, 0x12c, v143
	v_mov_b32_e32 v128, v136
	v_mov_b32_e32 v130, v137
	;; [unrolled: 1-line block ×4, first 2 shown]
	v_add_co_ci_u32_e32 v105, vcc_lo, v83, v105, vcc_lo
	v_lshlrev_b64 v[110:111], 4, v[110:111]
	v_add_co_u32 v106, vcc_lo, v82, v106
	v_add_co_ci_u32_e32 v107, vcc_lo, v83, v107, vcc_lo
	v_add_co_u32 v108, vcc_lo, v82, v108
	v_mad_u64_u32 v[133:134], null, s2, v142, 0
	v_lshlrev_b64 v[117:118], 4, v[122:123]
	v_lshlrev_b64 v[122:123], 4, v[125:126]
	;; [unrolled: 1-line block ×5, first 2 shown]
	v_mad_u64_u32 v[130:131], null, s3, v143, v[114:115]
	v_mov_b32_e32 v114, v121
	v_add_co_ci_u32_e32 v109, vcc_lo, v83, v109, vcc_lo
	v_add_co_u32 v110, vcc_lo, v82, v110
	v_add_co_ci_u32_e32 v111, vcc_lo, v83, v111, vcc_lo
	v_mad_u64_u32 v[131:132], null, s3, v141, v[114:115]
	v_add_co_u32 v114, vcc_lo, v82, v115
	v_add_co_ci_u32_e32 v115, vcc_lo, v83, v116, vcc_lo
	v_mov_b32_e32 v119, v134
	v_add_co_u32 v116, vcc_lo, v82, v117
	v_add_co_ci_u32_e32 v117, vcc_lo, v83, v118, vcc_lo
	v_add_co_u32 v118, vcc_lo, v82, v122
	v_mad_u64_u32 v[134:135], null, s3, v142, v[119:120]
	v_add_co_ci_u32_e32 v119, vcc_lo, v83, v123, vcc_lo
	v_add_co_u32 v122, vcc_lo, v82, v124
	v_add_co_ci_u32_e32 v123, vcc_lo, v83, v125, vcc_lo
	v_add_co_u32 v124, vcc_lo, v82, v126
	v_mov_b32_e32 v140, v130
	v_add_co_ci_u32_e32 v125, vcc_lo, v83, v127, vcc_lo
	v_mov_b32_e32 v121, v131
	v_add_co_u32 v126, vcc_lo, v82, v128
	v_add_co_ci_u32_e32 v127, vcc_lo, v83, v129, vcc_lo
	v_lshlrev_b64 v[128:129], 4, v[139:140]
	v_lshlrev_b64 v[120:121], 4, v[120:121]
	;; [unrolled: 1-line block ×3, first 2 shown]
	s_waitcnt vmcnt(9)
	v_mul_f64 v[137:138], v[24:25], v[34:35]
	s_waitcnt lgkmcnt(2)
	v_mul_f64 v[34:35], v[88:89], v[34:35]
	s_waitcnt vmcnt(8)
	v_mul_f64 v[139:140], v[22:23], v[30:31]
	s_waitcnt lgkmcnt(1)
	v_mul_f64 v[30:31], v[94:95], v[30:31]
	s_waitcnt vmcnt(7)
	v_mul_f64 v[141:142], v[18:19], v[42:43]
	s_waitcnt vmcnt(6)
	v_mul_f64 v[143:144], v[20:21], v[46:47]
	v_mul_f64 v[42:43], v[78:79], v[42:43]
	;; [unrolled: 1-line block ×3, first 2 shown]
	s_waitcnt vmcnt(5)
	v_mul_f64 v[135:136], v[8:9], v[50:51]
	s_waitcnt vmcnt(4)
	v_mul_f64 v[130:131], v[26:27], v[58:59]
	v_mul_f64 v[58:59], v[90:91], v[58:59]
	;; [unrolled: 1-line block ×3, first 2 shown]
	v_fma_f64 v[24:25], v[24:25], v[32:33], v[34:35]
	s_waitcnt vmcnt(3)
	v_mul_f64 v[145:146], v[16:17], v[70:71]
	s_waitcnt vmcnt(2)
	v_mul_f64 v[147:148], v[14:15], v[54:55]
	;; [unrolled: 2-line block ×4, first 2 shown]
	v_mul_f64 v[62:63], v[74:75], v[62:63]
	s_waitcnt lgkmcnt(0)
	v_mul_f64 v[66:67], v[96:97], v[66:67]
	v_mul_f64 v[70:71], v[76:77], v[70:71]
	;; [unrolled: 1-line block ×3, first 2 shown]
	v_fma_f64 v[90:91], v[90:91], v[56:57], -v[130:131]
	v_fma_f64 v[26:27], v[26:27], v[56:57], v[58:59]
	v_fma_f64 v[56:57], v[72:73], v[48:49], -v[135:136]
	v_fma_f64 v[8:9], v[8:9], v[48:49], v[50:51]
	v_fma_f64 v[48:49], v[88:89], v[32:33], -v[137:138]
	v_fma_f64 v[32:33], v[94:95], v[28:29], -v[139:140]
	v_fma_f64 v[22:23], v[22:23], v[28:29], v[30:31]
	v_fma_f64 v[28:29], v[78:79], v[40:41], -v[141:142]
	v_fma_f64 v[30:31], v[92:93], v[44:45], -v[143:144]
	v_fma_f64 v[18:19], v[18:19], v[40:41], v[42:43]
	v_fma_f64 v[20:21], v[20:21], v[44:45], v[46:47]
	v_fma_f64 v[34:35], v[76:77], v[68:69], -v[145:146]
	v_fma_f64 v[40:41], v[98:99], v[52:53], -v[147:148]
	;; [unrolled: 1-line block ×4, first 2 shown]
	v_fma_f64 v[46:47], v[10:11], v[60:61], v[62:63]
	v_fma_f64 v[50:51], v[12:13], v[64:65], v[66:67]
	;; [unrolled: 1-line block ×4, first 2 shown]
	v_add_co_u32 v60, vcc_lo, v82, v128
	v_add_f64 v[10:11], v[56:57], v[90:91]
	v_add_f64 v[14:15], v[8:9], v[26:27]
	;; [unrolled: 1-line block ×7, first 2 shown]
	v_add_f64 v[68:69], v[48:49], -v[32:33]
	v_add_f64 v[94:95], v[18:19], v[20:21]
	v_add_f64 v[48:49], v[24:25], v[22:23]
	v_add_f64 v[58:59], v[8:9], -v[26:27]
	v_add_f64 v[56:57], v[56:57], -v[90:91]
	;; [unrolled: 1-line block ×3, first 2 shown]
	v_add_f64 v[72:73], v[34:35], v[40:41]
	v_add_f64 v[18:19], v[4:5], v[18:19]
	;; [unrolled: 1-line block ×3, first 2 shown]
	v_add_f64 v[64:65], v[24:25], -v[22:23]
	v_add_f64 v[78:79], v[46:47], v[50:51]
	v_add_f64 v[24:25], v[6:7], v[24:25]
	;; [unrolled: 1-line block ×5, first 2 shown]
	v_fma_f64 v[96:97], v[10:11], -0.5, v[112:113]
	v_fma_f64 v[80:81], v[14:15], -0.5, v[80:81]
	v_add_f64 v[8:9], v[54:55], v[26:27]
	v_add_f64 v[26:27], v[86:87], v[34:35]
	;; [unrolled: 1-line block ×3, first 2 shown]
	v_fma_f64 v[38:39], v[62:63], -0.5, v[38:39]
	v_add_f64 v[62:63], v[46:47], -v[50:51]
	v_fma_f64 v[36:37], v[70:71], -0.5, v[36:37]
	v_add_f64 v[10:11], v[12:13], v[90:91]
	v_add_f64 v[90:91], v[34:35], -v[40:41]
	v_add_f64 v[34:35], v[2:3], v[16:17]
	v_add_f64 v[54:55], v[16:17], -v[52:53]
	v_add_f64 v[14:15], v[66:67], v[32:33]
	v_fma_f64 v[70:71], v[72:73], -0.5, v[86:87]
	v_add_f64 v[28:29], v[28:29], -v[30:31]
	v_fma_f64 v[72:73], v[74:75], -0.5, v[84:85]
	v_add_f64 v[74:75], v[42:43], -v[44:45]
	v_fma_f64 v[78:79], v[78:79], -0.5, v[0:1]
	v_fma_f64 v[84:85], v[94:95], -0.5, v[4:5]
	;; [unrolled: 1-line block ×4, first 2 shown]
	v_add_f64 v[0:1], v[18:19], v[20:21]
	v_fma_f64 v[18:19], v[58:59], s[4:5], v[96:97]
	v_fma_f64 v[16:17], v[56:57], s[0:1], v[80:81]
	;; [unrolled: 1-line block ×4, first 2 shown]
	v_add_f64 v[12:13], v[24:25], v[22:23]
	v_add_f64 v[22:23], v[26:27], v[40:41]
	;; [unrolled: 1-line block ×5, first 2 shown]
	v_fma_f64 v[58:59], v[76:77], s[4:5], v[36:37]
	v_add_f64 v[20:21], v[34:35], v[52:53]
	v_fma_f64 v[30:31], v[64:65], s[0:1], v[38:39]
	v_fma_f64 v[34:35], v[64:65], s[4:5], v[38:39]
	;; [unrolled: 1-line block ×15, first 2 shown]
	v_add_co_ci_u32_e32 v61, vcc_lo, v83, v129, vcc_lo
	v_add_co_u32 v62, vcc_lo, v82, v120
	v_add_co_ci_u32_e32 v63, vcc_lo, v83, v121, vcc_lo
	v_add_co_u32 v64, vcc_lo, v82, v132
	v_add_co_ci_u32_e32 v65, vcc_lo, v83, v133, vcc_lo
	global_store_dwordx4 v[100:101], v[8:11], off
	global_store_dwordx4 v[114:115], v[16:19], off
	global_store_dwordx4 v[116:117], v[4:7], off
	global_store_dwordx4 v[102:103], v[24:27], off
	global_store_dwordx4 v[104:105], v[48:51], off
	global_store_dwordx4 v[118:119], v[44:47], off
	global_store_dwordx4 v[106:107], v[20:23], off
	global_store_dwordx4 v[122:123], v[52:55], off
	global_store_dwordx4 v[108:109], v[40:43], off
	global_store_dwordx4 v[110:111], v[0:3], off
	global_store_dwordx4 v[124:125], v[56:59], off
	global_store_dwordx4 v[126:127], v[36:39], off
	global_store_dwordx4 v[60:61], v[12:15], off
	global_store_dwordx4 v[62:63], v[32:35], off
	global_store_dwordx4 v[64:65], v[28:31], off
.LBB0_19:
	s_endpgm
	.section	.rodata,"a",@progbits
	.p2align	6, 0x0
	.amdhsa_kernel fft_rtc_back_len450_factors_10_5_3_3_wgs_120_tpt_30_halfLds_dp_ip_CI_sbrr_dirReg
		.amdhsa_group_segment_fixed_size 0
		.amdhsa_private_segment_fixed_size 0
		.amdhsa_kernarg_size 88
		.amdhsa_user_sgpr_count 6
		.amdhsa_user_sgpr_private_segment_buffer 1
		.amdhsa_user_sgpr_dispatch_ptr 0
		.amdhsa_user_sgpr_queue_ptr 0
		.amdhsa_user_sgpr_kernarg_segment_ptr 1
		.amdhsa_user_sgpr_dispatch_id 0
		.amdhsa_user_sgpr_flat_scratch_init 0
		.amdhsa_user_sgpr_private_segment_size 0
		.amdhsa_wavefront_size32 1
		.amdhsa_uses_dynamic_stack 0
		.amdhsa_system_sgpr_private_segment_wavefront_offset 0
		.amdhsa_system_sgpr_workgroup_id_x 1
		.amdhsa_system_sgpr_workgroup_id_y 0
		.amdhsa_system_sgpr_workgroup_id_z 0
		.amdhsa_system_sgpr_workgroup_info 0
		.amdhsa_system_vgpr_workitem_id 0
		.amdhsa_next_free_vgpr 185
		.amdhsa_next_free_sgpr 24
		.amdhsa_reserve_vcc 1
		.amdhsa_reserve_flat_scratch 0
		.amdhsa_float_round_mode_32 0
		.amdhsa_float_round_mode_16_64 0
		.amdhsa_float_denorm_mode_32 3
		.amdhsa_float_denorm_mode_16_64 3
		.amdhsa_dx10_clamp 1
		.amdhsa_ieee_mode 1
		.amdhsa_fp16_overflow 0
		.amdhsa_workgroup_processor_mode 1
		.amdhsa_memory_ordered 1
		.amdhsa_forward_progress 0
		.amdhsa_shared_vgpr_count 0
		.amdhsa_exception_fp_ieee_invalid_op 0
		.amdhsa_exception_fp_denorm_src 0
		.amdhsa_exception_fp_ieee_div_zero 0
		.amdhsa_exception_fp_ieee_overflow 0
		.amdhsa_exception_fp_ieee_underflow 0
		.amdhsa_exception_fp_ieee_inexact 0
		.amdhsa_exception_int_div_zero 0
	.end_amdhsa_kernel
	.text
.Lfunc_end0:
	.size	fft_rtc_back_len450_factors_10_5_3_3_wgs_120_tpt_30_halfLds_dp_ip_CI_sbrr_dirReg, .Lfunc_end0-fft_rtc_back_len450_factors_10_5_3_3_wgs_120_tpt_30_halfLds_dp_ip_CI_sbrr_dirReg
                                        ; -- End function
	.section	.AMDGPU.csdata,"",@progbits
; Kernel info:
; codeLenInByte = 11772
; NumSgprs: 26
; NumVgprs: 185
; ScratchSize: 0
; MemoryBound: 1
; FloatMode: 240
; IeeeMode: 1
; LDSByteSize: 0 bytes/workgroup (compile time only)
; SGPRBlocks: 3
; VGPRBlocks: 23
; NumSGPRsForWavesPerEU: 26
; NumVGPRsForWavesPerEU: 185
; Occupancy: 5
; WaveLimiterHint : 1
; COMPUTE_PGM_RSRC2:SCRATCH_EN: 0
; COMPUTE_PGM_RSRC2:USER_SGPR: 6
; COMPUTE_PGM_RSRC2:TRAP_HANDLER: 0
; COMPUTE_PGM_RSRC2:TGID_X_EN: 1
; COMPUTE_PGM_RSRC2:TGID_Y_EN: 0
; COMPUTE_PGM_RSRC2:TGID_Z_EN: 0
; COMPUTE_PGM_RSRC2:TIDIG_COMP_CNT: 0
	.text
	.p2alignl 6, 3214868480
	.fill 48, 4, 3214868480
	.type	__hip_cuid_e5a0c718c34fed03,@object ; @__hip_cuid_e5a0c718c34fed03
	.section	.bss,"aw",@nobits
	.globl	__hip_cuid_e5a0c718c34fed03
__hip_cuid_e5a0c718c34fed03:
	.byte	0                               ; 0x0
	.size	__hip_cuid_e5a0c718c34fed03, 1

	.ident	"AMD clang version 19.0.0git (https://github.com/RadeonOpenCompute/llvm-project roc-6.4.0 25133 c7fe45cf4b819c5991fe208aaa96edf142730f1d)"
	.section	".note.GNU-stack","",@progbits
	.addrsig
	.addrsig_sym __hip_cuid_e5a0c718c34fed03
	.amdgpu_metadata
---
amdhsa.kernels:
  - .args:
      - .actual_access:  read_only
        .address_space:  global
        .offset:         0
        .size:           8
        .value_kind:     global_buffer
      - .offset:         8
        .size:           8
        .value_kind:     by_value
      - .actual_access:  read_only
        .address_space:  global
        .offset:         16
        .size:           8
        .value_kind:     global_buffer
      - .actual_access:  read_only
        .address_space:  global
        .offset:         24
        .size:           8
        .value_kind:     global_buffer
      - .offset:         32
        .size:           8
        .value_kind:     by_value
      - .actual_access:  read_only
        .address_space:  global
        .offset:         40
        .size:           8
        .value_kind:     global_buffer
      - .actual_access:  read_only
        .address_space:  global
        .offset:         48
        .size:           8
        .value_kind:     global_buffer
      - .offset:         56
        .size:           4
        .value_kind:     by_value
      - .actual_access:  read_only
        .address_space:  global
        .offset:         64
        .size:           8
        .value_kind:     global_buffer
      - .actual_access:  read_only
        .address_space:  global
        .offset:         72
        .size:           8
        .value_kind:     global_buffer
      - .address_space:  global
        .offset:         80
        .size:           8
        .value_kind:     global_buffer
    .group_segment_fixed_size: 0
    .kernarg_segment_align: 8
    .kernarg_segment_size: 88
    .language:       OpenCL C
    .language_version:
      - 2
      - 0
    .max_flat_workgroup_size: 120
    .name:           fft_rtc_back_len450_factors_10_5_3_3_wgs_120_tpt_30_halfLds_dp_ip_CI_sbrr_dirReg
    .private_segment_fixed_size: 0
    .sgpr_count:     26
    .sgpr_spill_count: 0
    .symbol:         fft_rtc_back_len450_factors_10_5_3_3_wgs_120_tpt_30_halfLds_dp_ip_CI_sbrr_dirReg.kd
    .uniform_work_group_size: 1
    .uses_dynamic_stack: false
    .vgpr_count:     185
    .vgpr_spill_count: 0
    .wavefront_size: 32
    .workgroup_processor_mode: 1
amdhsa.target:   amdgcn-amd-amdhsa--gfx1030
amdhsa.version:
  - 1
  - 2
...

	.end_amdgpu_metadata
